;; amdgpu-corpus repo=ROCm/rocFFT kind=compiled arch=gfx1030 opt=O3
	.text
	.amdgcn_target "amdgcn-amd-amdhsa--gfx1030"
	.amdhsa_code_object_version 6
	.protected	fft_rtc_fwd_len832_factors_13_2_2_2_2_2_2_wgs_104_tpt_104_halfLds_half_op_CI_CI_unitstride_sbrr_R2C_dirReg ; -- Begin function fft_rtc_fwd_len832_factors_13_2_2_2_2_2_2_wgs_104_tpt_104_halfLds_half_op_CI_CI_unitstride_sbrr_R2C_dirReg
	.globl	fft_rtc_fwd_len832_factors_13_2_2_2_2_2_2_wgs_104_tpt_104_halfLds_half_op_CI_CI_unitstride_sbrr_R2C_dirReg
	.p2align	8
	.type	fft_rtc_fwd_len832_factors_13_2_2_2_2_2_2_wgs_104_tpt_104_halfLds_half_op_CI_CI_unitstride_sbrr_R2C_dirReg,@function
fft_rtc_fwd_len832_factors_13_2_2_2_2_2_2_wgs_104_tpt_104_halfLds_half_op_CI_CI_unitstride_sbrr_R2C_dirReg: ; @fft_rtc_fwd_len832_factors_13_2_2_2_2_2_2_wgs_104_tpt_104_halfLds_half_op_CI_CI_unitstride_sbrr_R2C_dirReg
; %bb.0:
	s_clause 0x2
	s_load_dwordx4 s[12:15], s[4:5], 0x0
	s_load_dwordx4 s[8:11], s[4:5], 0x58
	;; [unrolled: 1-line block ×3, first 2 shown]
	v_mul_u32_u24_e32 v1, 0x277, v0
	v_mov_b32_e32 v8, 0
	v_mov_b32_e32 v6, 0
	;; [unrolled: 1-line block ×3, first 2 shown]
	v_add_nc_u32_sdwa v10, s6, v1 dst_sel:DWORD dst_unused:UNUSED_PAD src0_sel:DWORD src1_sel:WORD_1
	v_mov_b32_e32 v11, v8
	s_waitcnt lgkmcnt(0)
	v_cmp_lt_u64_e64 s0, s[14:15], 2
	s_and_b32 vcc_lo, exec_lo, s0
	s_cbranch_vccnz .LBB0_8
; %bb.1:
	s_load_dwordx2 s[0:1], s[4:5], 0x10
	v_mov_b32_e32 v6, 0
	v_mov_b32_e32 v7, 0
	s_add_u32 s2, s18, 8
	s_addc_u32 s3, s19, 0
	v_mov_b32_e32 v1, v6
	s_add_u32 s6, s16, 8
	v_mov_b32_e32 v2, v7
	s_addc_u32 s7, s17, 0
	s_mov_b64 s[22:23], 1
	s_waitcnt lgkmcnt(0)
	s_add_u32 s20, s0, 8
	s_addc_u32 s21, s1, 0
.LBB0_2:                                ; =>This Inner Loop Header: Depth=1
	s_load_dwordx2 s[24:25], s[20:21], 0x0
                                        ; implicit-def: $vgpr3_vgpr4
	s_mov_b32 s0, exec_lo
	s_waitcnt lgkmcnt(0)
	v_or_b32_e32 v9, s25, v11
	v_cmpx_ne_u64_e32 0, v[8:9]
	s_xor_b32 s1, exec_lo, s0
	s_cbranch_execz .LBB0_4
; %bb.3:                                ;   in Loop: Header=BB0_2 Depth=1
	v_cvt_f32_u32_e32 v3, s24
	v_cvt_f32_u32_e32 v4, s25
	s_sub_u32 s0, 0, s24
	s_subb_u32 s26, 0, s25
	v_fmac_f32_e32 v3, 0x4f800000, v4
	v_rcp_f32_e32 v3, v3
	v_mul_f32_e32 v3, 0x5f7ffffc, v3
	v_mul_f32_e32 v4, 0x2f800000, v3
	v_trunc_f32_e32 v4, v4
	v_fmac_f32_e32 v3, 0xcf800000, v4
	v_cvt_u32_f32_e32 v4, v4
	v_cvt_u32_f32_e32 v3, v3
	v_mul_lo_u32 v5, s0, v4
	v_mul_hi_u32 v9, s0, v3
	v_mul_lo_u32 v12, s26, v3
	v_add_nc_u32_e32 v5, v9, v5
	v_mul_lo_u32 v9, s0, v3
	v_add_nc_u32_e32 v5, v5, v12
	v_mul_hi_u32 v12, v3, v9
	v_mul_lo_u32 v13, v3, v5
	v_mul_hi_u32 v14, v3, v5
	v_mul_hi_u32 v15, v4, v9
	v_mul_lo_u32 v9, v4, v9
	v_mul_hi_u32 v16, v4, v5
	v_mul_lo_u32 v5, v4, v5
	v_add_co_u32 v12, vcc_lo, v12, v13
	v_add_co_ci_u32_e32 v13, vcc_lo, 0, v14, vcc_lo
	v_add_co_u32 v9, vcc_lo, v12, v9
	v_add_co_ci_u32_e32 v9, vcc_lo, v13, v15, vcc_lo
	v_add_co_ci_u32_e32 v12, vcc_lo, 0, v16, vcc_lo
	v_add_co_u32 v5, vcc_lo, v9, v5
	v_add_co_ci_u32_e32 v9, vcc_lo, 0, v12, vcc_lo
	v_add_co_u32 v3, vcc_lo, v3, v5
	v_add_co_ci_u32_e32 v4, vcc_lo, v4, v9, vcc_lo
	v_mul_hi_u32 v5, s0, v3
	v_mul_lo_u32 v12, s26, v3
	v_mul_lo_u32 v9, s0, v4
	v_add_nc_u32_e32 v5, v5, v9
	v_mul_lo_u32 v9, s0, v3
	v_add_nc_u32_e32 v5, v5, v12
	v_mul_hi_u32 v12, v3, v9
	v_mul_lo_u32 v13, v3, v5
	v_mul_hi_u32 v14, v3, v5
	v_mul_hi_u32 v15, v4, v9
	v_mul_lo_u32 v9, v4, v9
	v_mul_hi_u32 v16, v4, v5
	v_mul_lo_u32 v5, v4, v5
	v_add_co_u32 v12, vcc_lo, v12, v13
	v_add_co_ci_u32_e32 v13, vcc_lo, 0, v14, vcc_lo
	v_add_co_u32 v9, vcc_lo, v12, v9
	v_add_co_ci_u32_e32 v9, vcc_lo, v13, v15, vcc_lo
	v_add_co_ci_u32_e32 v12, vcc_lo, 0, v16, vcc_lo
	v_add_co_u32 v5, vcc_lo, v9, v5
	v_add_co_ci_u32_e32 v9, vcc_lo, 0, v12, vcc_lo
	v_add_co_u32 v5, vcc_lo, v3, v5
	v_add_co_ci_u32_e32 v9, vcc_lo, v4, v9, vcc_lo
	v_mul_hi_u32 v16, v10, v5
	v_mad_u64_u32 v[12:13], null, v11, v5, 0
	v_mad_u64_u32 v[3:4], null, v10, v9, 0
	;; [unrolled: 1-line block ×3, first 2 shown]
	v_add_co_u32 v3, vcc_lo, v16, v3
	v_add_co_ci_u32_e32 v4, vcc_lo, 0, v4, vcc_lo
	v_add_co_u32 v3, vcc_lo, v3, v12
	v_add_co_ci_u32_e32 v3, vcc_lo, v4, v13, vcc_lo
	v_add_co_ci_u32_e32 v4, vcc_lo, 0, v15, vcc_lo
	v_add_co_u32 v5, vcc_lo, v3, v14
	v_add_co_ci_u32_e32 v9, vcc_lo, 0, v4, vcc_lo
	v_mul_lo_u32 v12, s25, v5
	v_mad_u64_u32 v[3:4], null, s24, v5, 0
	v_mul_lo_u32 v13, s24, v9
	v_sub_co_u32 v3, vcc_lo, v10, v3
	v_add3_u32 v4, v4, v13, v12
	v_sub_nc_u32_e32 v12, v11, v4
	v_subrev_co_ci_u32_e64 v12, s0, s25, v12, vcc_lo
	v_add_co_u32 v13, s0, v5, 2
	v_add_co_ci_u32_e64 v14, s0, 0, v9, s0
	v_sub_co_u32 v15, s0, v3, s24
	v_sub_co_ci_u32_e32 v4, vcc_lo, v11, v4, vcc_lo
	v_subrev_co_ci_u32_e64 v12, s0, 0, v12, s0
	v_cmp_le_u32_e32 vcc_lo, s24, v15
	v_cmp_eq_u32_e64 s0, s25, v4
	v_cndmask_b32_e64 v15, 0, -1, vcc_lo
	v_cmp_le_u32_e32 vcc_lo, s25, v12
	v_cndmask_b32_e64 v16, 0, -1, vcc_lo
	v_cmp_le_u32_e32 vcc_lo, s24, v3
	;; [unrolled: 2-line block ×3, first 2 shown]
	v_cndmask_b32_e64 v17, 0, -1, vcc_lo
	v_cmp_eq_u32_e32 vcc_lo, s25, v12
	v_cndmask_b32_e64 v3, v17, v3, s0
	v_cndmask_b32_e32 v12, v16, v15, vcc_lo
	v_add_co_u32 v15, vcc_lo, v5, 1
	v_add_co_ci_u32_e32 v16, vcc_lo, 0, v9, vcc_lo
	v_cmp_ne_u32_e32 vcc_lo, 0, v12
	v_cndmask_b32_e32 v4, v16, v14, vcc_lo
	v_cndmask_b32_e32 v12, v15, v13, vcc_lo
	v_cmp_ne_u32_e32 vcc_lo, 0, v3
	v_cndmask_b32_e32 v4, v9, v4, vcc_lo
	v_cndmask_b32_e32 v3, v5, v12, vcc_lo
.LBB0_4:                                ;   in Loop: Header=BB0_2 Depth=1
	s_andn2_saveexec_b32 s0, s1
	s_cbranch_execz .LBB0_6
; %bb.5:                                ;   in Loop: Header=BB0_2 Depth=1
	v_cvt_f32_u32_e32 v3, s24
	s_sub_i32 s1, 0, s24
	v_rcp_iflag_f32_e32 v3, v3
	v_mul_f32_e32 v3, 0x4f7ffffe, v3
	v_cvt_u32_f32_e32 v3, v3
	v_mul_lo_u32 v4, s1, v3
	v_mul_hi_u32 v4, v3, v4
	v_add_nc_u32_e32 v3, v3, v4
	v_mul_hi_u32 v3, v10, v3
	v_mul_lo_u32 v4, v3, s24
	v_add_nc_u32_e32 v5, 1, v3
	v_sub_nc_u32_e32 v4, v10, v4
	v_subrev_nc_u32_e32 v9, s24, v4
	v_cmp_le_u32_e32 vcc_lo, s24, v4
	v_cndmask_b32_e32 v4, v4, v9, vcc_lo
	v_cndmask_b32_e32 v3, v3, v5, vcc_lo
	v_cmp_le_u32_e32 vcc_lo, s24, v4
	v_add_nc_u32_e32 v5, 1, v3
	v_mov_b32_e32 v4, v8
	v_cndmask_b32_e32 v3, v3, v5, vcc_lo
.LBB0_6:                                ;   in Loop: Header=BB0_2 Depth=1
	s_or_b32 exec_lo, exec_lo, s0
	v_mul_lo_u32 v5, v4, s24
	v_mul_lo_u32 v9, v3, s25
	s_load_dwordx2 s[0:1], s[6:7], 0x0
	v_mad_u64_u32 v[12:13], null, v3, s24, 0
	s_load_dwordx2 s[24:25], s[2:3], 0x0
	s_add_u32 s22, s22, 1
	s_addc_u32 s23, s23, 0
	s_add_u32 s2, s2, 8
	s_addc_u32 s3, s3, 0
	s_add_u32 s6, s6, 8
	v_add3_u32 v5, v13, v9, v5
	v_sub_co_u32 v9, vcc_lo, v10, v12
	s_addc_u32 s7, s7, 0
	s_add_u32 s20, s20, 8
	v_sub_co_ci_u32_e32 v5, vcc_lo, v11, v5, vcc_lo
	s_addc_u32 s21, s21, 0
	s_waitcnt lgkmcnt(0)
	v_mul_lo_u32 v10, s0, v5
	v_mul_lo_u32 v11, s1, v9
	v_mad_u64_u32 v[6:7], null, s0, v9, v[6:7]
	v_mul_lo_u32 v5, s24, v5
	v_mul_lo_u32 v12, s25, v9
	v_mad_u64_u32 v[1:2], null, s24, v9, v[1:2]
	v_cmp_ge_u64_e64 s0, s[22:23], s[14:15]
	v_add3_u32 v7, v11, v7, v10
	v_add3_u32 v2, v12, v2, v5
	s_and_b32 vcc_lo, exec_lo, s0
	s_cbranch_vccnz .LBB0_9
; %bb.7:                                ;   in Loop: Header=BB0_2 Depth=1
	v_mov_b32_e32 v11, v4
	v_mov_b32_e32 v10, v3
	s_branch .LBB0_2
.LBB0_8:
	v_mov_b32_e32 v1, v6
	v_mov_b32_e32 v3, v10
	;; [unrolled: 1-line block ×4, first 2 shown]
.LBB0_9:
	s_load_dwordx2 s[0:1], s[4:5], 0x28
	v_mul_hi_u32 v8, 0x2762763, v0
	s_lshl_b64 s[4:5], s[14:15], 3
                                        ; implicit-def: $vgpr5
	s_add_u32 s2, s18, s4
	s_addc_u32 s3, s19, s5
	s_waitcnt lgkmcnt(0)
	v_cmp_gt_u64_e32 vcc_lo, s[0:1], v[3:4]
	v_cmp_le_u64_e64 s0, s[0:1], v[3:4]
	s_and_saveexec_b32 s1, s0
	s_xor_b32 s0, exec_lo, s1
; %bb.10:
	v_mul_u32_u24_e32 v5, 0x68, v8
                                        ; implicit-def: $vgpr8
                                        ; implicit-def: $vgpr6_vgpr7
	v_sub_nc_u32_e32 v5, v0, v5
                                        ; implicit-def: $vgpr0
; %bb.11:
	s_andn2_saveexec_b32 s1, s0
	s_cbranch_execz .LBB0_13
; %bb.12:
	s_add_u32 s4, s16, s4
	s_addc_u32 s5, s17, s5
	v_lshlrev_b64 v[6:7], 2, v[6:7]
	s_load_dwordx2 s[4:5], s[4:5], 0x0
	s_waitcnt lgkmcnt(0)
	v_mul_lo_u32 v5, s5, v3
	v_mul_lo_u32 v11, s4, v4
	v_mad_u64_u32 v[9:10], null, s4, v3, 0
	v_add3_u32 v10, v10, v11, v5
	v_mul_u32_u24_e32 v5, 0x68, v8
	v_lshlrev_b64 v[8:9], 2, v[9:10]
	v_sub_nc_u32_e32 v5, v0, v5
	v_lshlrev_b32_e32 v10, 2, v5
	v_add_co_u32 v0, s0, s8, v8
	v_add_co_ci_u32_e64 v8, s0, s9, v9, s0
	v_add_co_u32 v0, s0, v0, v6
	v_add_co_ci_u32_e64 v7, s0, v8, v7, s0
	;; [unrolled: 2-line block ×4, first 2 shown]
	s_clause 0x7
	global_load_dword v0, v[6:7], off
	global_load_dword v11, v[6:7], off offset:416
	global_load_dword v12, v[6:7], off offset:832
	;; [unrolled: 1-line block ×7, first 2 shown]
	v_add_nc_u32_e32 v9, 0, v10
	v_add_nc_u32_e32 v10, 0x200, v9
	;; [unrolled: 1-line block ×4, first 2 shown]
	s_waitcnt vmcnt(6)
	ds_write2_b32 v9, v0, v11 offset1:104
	s_waitcnt vmcnt(4)
	ds_write2_b32 v10, v12, v13 offset0:80 offset1:184
	s_waitcnt vmcnt(2)
	ds_write2_b32 v15, v6, v7 offset0:32 offset1:136
	;; [unrolled: 2-line block ×3, first 2 shown]
.LBB0_13:
	s_or_b32 exec_lo, exec_lo, s1
	v_lshl_add_u32 v0, v5, 2, 0
	s_waitcnt lgkmcnt(0)
	s_barrier
	buffer_gl0_inv
	s_mov_b32 s1, exec_lo
	ds_read2st64_b32 v[6:7], v0 offset1:1
	ds_read2st64_b32 v[16:17], v0 offset0:2 offset1:3
	ds_read2st64_b32 v[14:15], v0 offset0:4 offset1:5
	;; [unrolled: 1-line block ×5, first 2 shown]
	ds_read_b32 v27, v0 offset:3072
	s_waitcnt lgkmcnt(0)
	s_barrier
	buffer_gl0_inv
	v_cmpx_gt_u32_e32 64, v5
	s_cbranch_execz .LBB0_15
; %bb.14:
	v_pk_add_f16 v18, v6, v7
	v_pk_add_f16 v26, v27, v7
	v_pk_add_f16 v23, v7, v27 neg_lo:[0,1] neg_hi:[0,1]
	v_pk_add_f16 v22, v11, v14
	v_pk_add_f16 v24, v8, v17
	v_pk_add_f16 v7, v18, v16
	v_pk_add_f16 v18, v14, v11 neg_lo:[0,1] neg_hi:[0,1]
	v_pk_add_f16 v19, v17, v8 neg_lo:[0,1] neg_hi:[0,1]
	v_pk_add_f16 v25, v9, v16
	v_pk_add_f16 v21, v16, v9 neg_lo:[0,1] neg_hi:[0,1]
	v_pk_add_f16 v28, v7, v17
	v_pk_add_f16 v17, v13, v12
	v_pk_add_f16 v7, v12, v13 neg_lo:[0,1] neg_hi:[0,1]
	v_pk_add_f16 v20, v10, v15
	v_pk_add_f16 v16, v15, v10 neg_lo:[0,1] neg_hi:[0,1]
	v_pk_add_f16 v14, v28, v14
	v_lshrrev_b32_e32 v32, 16, v26
	v_mov_b32_e32 v28, 0xb94e
	v_mul_f16_e32 v33, 0x3bf1, v21
	v_lshrrev_b32_e32 v34, 16, v25
	v_pk_add_f16 v14, v14, v15
	v_mul_f16_e32 v15, 0xb94e, v23
	v_mov_b32_e32 v29, 0x3bf1
	v_lshrrev_b32_e32 v35, 16, v24
	v_mul_f16_sdwa v39, v23, v28 dst_sel:DWORD dst_unused:UNUSED_PAD src0_sel:WORD_1 src1_sel:DWORD
	v_pk_add_f16 v12, v14, v12
	v_fmamk_f16 v40, v32, 0xb9fd, v15
	v_mul_f16_e32 v14, 0xba95, v19
	v_fmamk_f16 v41, v34, 0x2fb7, v33
	v_mov_b32_e32 v30, 0xba95
	v_pk_add_f16 v12, v12, v13
	v_add_f16_sdwa v40, v6, v40 dst_sel:DWORD dst_unused:UNUSED_PAD src0_sel:WORD_1 src1_sel:DWORD
	v_mul_f16_e32 v36, 0x33a8, v18
	v_lshrrev_b32_e32 v37, 16, v22
	v_fmamk_f16 v42, v35, 0x388b, v14
	v_pk_add_f16 v10, v12, v10
	v_mul_f16_sdwa v12, v21, v29 dst_sel:DWORD dst_unused:UNUSED_PAD src0_sel:WORD_1 src1_sel:DWORD
	v_fma_f16 v43, v26, 0xb9fd, -v39
	v_add_f16_e32 v40, v41, v40
	v_mov_b32_e32 v31, 0x33a8
	v_pk_add_f16 v10, v10, v11
	v_mul_f16_e32 v13, 0x3770, v16
	v_lshrrev_b32_e32 v38, 16, v20
	v_mul_f16_sdwa v29, v19, v30 dst_sel:DWORD dst_unused:UNUSED_PAD src0_sel:WORD_1 src1_sel:DWORD
	v_fma_f16 v41, v25, 0x2fb7, -v12
	v_pk_add_f16 v8, v10, v8
	v_fmamk_f16 v10, v37, 0xbbc4, v36
	v_add_f16_e32 v43, v6, v43
	v_add_f16_e32 v40, v42, v40
	v_mul_f16_sdwa v11, v18, v31 dst_sel:DWORD dst_unused:UNUSED_PAD src0_sel:WORD_1 src1_sel:DWORD
	v_pk_add_f16 v8, v8, v9
	v_fmamk_f16 v9, v38, 0x3b15, v13
	v_fma_f16 v42, v24, 0x388b, -v29
	v_add_f16_e32 v41, v41, v43
	v_add_f16_e32 v10, v10, v40
	v_pk_add_f16 v8, v8, v27
	v_mov_b32_e32 v27, 0x3770
	v_mul_f16_e32 v40, 0xbb7b, v7
	v_lshrrev_b32_e32 v43, 16, v17
	v_add_f16_e32 v41, v42, v41
	v_fma_f16 v42, v22, 0xbbc4, -v11
	v_mul_f16_sdwa v44, v16, v27 dst_sel:DWORD dst_unused:UNUSED_PAD src0_sel:WORD_1 src1_sel:DWORD
	v_mul_f16_e32 v45, 0xbb7b, v23
	v_add_f16_e32 v9, v9, v10
	v_fmamk_f16 v10, v43, 0xb5ac, v40
	v_add_f16_e32 v41, v42, v41
	v_fma_f16 v42, v20, 0x3b15, -v44
	v_fmamk_f16 v46, v32, 0xb5ac, v45
	v_mov_b32_e32 v47, 0xbb7b
	v_add_f16_e32 v9, v10, v9
	v_mul_f16_e32 v10, 0x394e, v21
	v_add_f16_e32 v41, v42, v41
	v_add_f16_sdwa v42, v6, v46 dst_sel:DWORD dst_unused:UNUSED_PAD src0_sel:WORD_1 src1_sel:DWORD
	v_mul_f16_sdwa v46, v23, v47 dst_sel:DWORD dst_unused:UNUSED_PAD src0_sel:WORD_1 src1_sel:DWORD
	v_mov_b32_e32 v48, 0x394e
	v_fmamk_f16 v49, v34, 0xb9fd, v10
	v_mul_f16_e32 v50, 0x3770, v19
	v_mul_f16_e32 v53, 0xbbf1, v18
	v_fma_f16 v52, v26, 0xb5ac, -v46
	v_mul_f16_sdwa v48, v21, v48 dst_sel:DWORD dst_unused:UNUSED_PAD src0_sel:WORD_1 src1_sel:DWORD
	v_add_f16_e32 v42, v49, v42
	v_fmamk_f16 v49, v35, 0x3b15, v50
	v_mul_f16_e32 v59, 0xbbf1, v23
	v_add_f16_e32 v52, v6, v52
	v_fma_f16 v54, v25, 0xb9fd, -v48
	v_mul_f16_sdwa v55, v19, v27 dst_sel:DWORD dst_unused:UNUSED_PAD src0_sel:WORD_1 src1_sel:DWORD
	v_mov_b32_e32 v56, 0xbbf1
	v_add_f16_e32 v42, v49, v42
	v_fmamk_f16 v49, v37, 0x2fb7, v53
	v_fmamk_f16 v60, v32, 0x2fb7, v59
	v_mul_f16_e32 v61, 0xb3a8, v21
	v_mul_f16_sdwa v51, v7, v47 dst_sel:DWORD dst_unused:UNUSED_PAD src0_sel:WORD_1 src1_sel:DWORD
	v_add_f16_e32 v52, v54, v52
	v_fma_f16 v54, v24, 0x3b15, -v55
	v_mul_f16_sdwa v57, v18, v56 dst_sel:DWORD dst_unused:UNUSED_PAD src0_sel:WORD_1 src1_sel:DWORD
	v_add_f16_e32 v42, v49, v42
	v_mul_f16_e32 v49, 0x33a8, v16
	v_add_f16_sdwa v60, v6, v60 dst_sel:DWORD dst_unused:UNUSED_PAD src0_sel:WORD_1 src1_sel:DWORD
	v_fmamk_f16 v64, v34, 0xbbc4, v61
	v_mul_f16_e32 v65, 0x3b7b, v19
	v_fma_f16 v58, v17, 0xb5ac, -v51
	v_add_f16_e32 v52, v54, v52
	v_fma_f16 v54, v22, 0x2fb7, -v57
	v_mul_f16_sdwa v31, v16, v31 dst_sel:DWORD dst_unused:UNUSED_PAD src0_sel:WORD_1 src1_sel:DWORD
	v_mov_b32_e32 v62, 0x3a95
	v_fmamk_f16 v63, v38, 0xbbc4, v49
	v_add_f16_e32 v60, v64, v60
	v_fmamk_f16 v64, v35, 0xb5ac, v65
	v_mul_f16_e32 v67, 0x3770, v18
	v_mul_f16_e32 v66, 0x3a95, v7
	v_add_f16_e32 v52, v54, v52
	v_fma_f16 v54, v20, 0xbbc4, -v31
	v_mul_f16_sdwa v62, v7, v62 dst_sel:DWORD dst_unused:UNUSED_PAD src0_sel:WORD_1 src1_sel:DWORD
	v_add_f16_e32 v41, v58, v41
	v_add_f16_e32 v42, v63, v42
	;; [unrolled: 1-line block ×3, first 2 shown]
	v_fmamk_f16 v60, v37, 0x3b15, v67
	v_mul_f16_e32 v63, 0xba95, v16
	v_fmamk_f16 v64, v43, 0x388b, v66
	v_add_f16_e32 v52, v54, v52
	v_fma_f16 v54, v17, 0x388b, -v62
	v_add_f16_e32 v58, v60, v58
	v_fmamk_f16 v60, v38, 0x388b, v63
	v_mul_f16_sdwa v68, v23, v56 dst_sel:DWORD dst_unused:UNUSED_PAD src0_sel:WORD_1 src1_sel:DWORD
	v_mov_b32_e32 v69, 0xb3a8
	v_add_f16_e32 v42, v64, v42
	v_add_f16_e32 v52, v54, v52
	;; [unrolled: 1-line block ×3, first 2 shown]
	v_fma_f16 v58, v26, 0x2fb7, -v68
	v_mul_f16_sdwa v60, v21, v69 dst_sel:DWORD dst_unused:UNUSED_PAD src0_sel:WORD_1 src1_sel:DWORD
	v_mov_b32_e32 v64, 0x3b7b
	v_mul_f16_e32 v71, 0xba95, v23
	v_mul_f16_e32 v75, 0xbb7b, v21
	v_add_f16_e32 v58, v6, v58
	v_fma_f16 v72, v25, 0xbbc4, -v60
	v_mul_f16_sdwa v64, v19, v64 dst_sel:DWORD dst_unused:UNUSED_PAD src0_sel:WORD_1 src1_sel:DWORD
	v_fmamk_f16 v74, v32, 0x388b, v71
	v_mul_f16_sdwa v27, v18, v27 dst_sel:DWORD dst_unused:UNUSED_PAD src0_sel:WORD_1 src1_sel:DWORD
	v_mul_f16_e32 v70, 0xb9fd, v43
	v_add_f16_e32 v58, v72, v58
	v_fma_f16 v72, v24, 0xb5ac, -v64
	v_add_f16_sdwa v74, v6, v74 dst_sel:DWORD dst_unused:UNUSED_PAD src0_sel:WORD_1 src1_sel:DWORD
	v_fmamk_f16 v76, v34, 0xb5ac, v75
	v_mul_f16_e32 v77, 0xb3a8, v19
	v_fmamk_f16 v73, v7, 0xb94e, v70
	v_add_f16_e32 v58, v72, v58
	v_fma_f16 v72, v22, 0x3b15, -v27
	v_add_f16_e32 v74, v76, v74
	v_fmamk_f16 v76, v35, 0xbbc4, v77
	v_mul_f16_e32 v79, 0x394e, v18
	v_add_f16_e32 v54, v73, v54
	v_add_f16_e32 v58, v72, v58
	v_pk_mul_f16 v72, 0x3b15388b, v26
	v_add_f16_e32 v73, v76, v74
	v_pk_mul_f16 v81, 0x388bb5ac, v25
	v_mul_f16_sdwa v78, v16, v30 dst_sel:DWORD dst_unused:UNUSED_PAD src0_sel:WORD_1 src1_sel:DWORD
	v_fmamk_f16 v74, v37, 0xb9fd, v79
	v_pk_fma_f16 v76, 0xba95b770, v23, v72 op_sel:[0,0,1] op_sel_hi:[1,1,0]
	v_pk_fma_f16 v72, 0xba95b770, v23, v72 op_sel:[0,0,1] op_sel_hi:[1,1,0] neg_lo:[0,1,0] neg_hi:[0,1,0]
	v_mul_f16_e32 v82, 0x3bf1, v16
	v_pk_fma_f16 v83, 0xbb7bba95, v21, v81 op_sel:[0,0,1] op_sel_hi:[1,1,0]
	v_pk_fma_f16 v81, 0xbb7bba95, v21, v81 op_sel:[0,0,1] op_sel_hi:[1,1,0] neg_lo:[0,1,0] neg_hi:[0,1,0]
	v_pk_mul_f16 v85, 0x2fb7bbc4, v24
	v_bfi_b32 v84, 0xffff, v76, v72
	v_fma_f16 v80, v20, 0x388b, -v78
	v_add_f16_e32 v73, v74, v73
	v_fmamk_f16 v74, v38, 0x2fb7, v82
	v_bfi_b32 v86, 0xffff, v83, v81
	v_pk_add_f16 v84, v6, v84 op_sel:[1,0] op_sel_hi:[0,1]
	v_pk_fma_f16 v87, 0xb3a8bbf1, v19, v85 op_sel:[0,0,1] op_sel_hi:[1,1,0]
	v_pk_fma_f16 v85, 0xb3a8bbf1, v19, v85 op_sel:[0,0,1] op_sel_hi:[1,1,0] neg_lo:[0,1,0] neg_hi:[0,1,0]
	v_pk_mul_f16 v88, 0xb5acb9fd, v22
	v_add_f16_e32 v58, v80, v58
	v_mul_f16_sdwa v80, v7, v28 dst_sel:DWORD dst_unused:UNUSED_PAD src0_sel:WORD_1 src1_sel:DWORD
	v_pk_add_f16 v84, v86, v84
	v_bfi_b32 v86, 0xffff, v87, v85
	v_pk_fma_f16 v91, 0x394ebb7b, v18, v88 op_sel:[0,0,1] op_sel_hi:[1,1,0]
	v_pk_fma_f16 v88, 0x394ebb7b, v18, v88 op_sel:[0,0,1] op_sel_hi:[1,1,0] neg_lo:[0,1,0] neg_hi:[0,1,0]
	v_pk_mul_f16 v92, 0xb9fd2fb7, v20
	v_add_f16_e32 v73, v74, v73
	v_mov_b32_e32 v74, 0xb770
	v_fma_f16 v90, v17, 0xb9fd, -v80
	v_pk_add_f16 v84, v86, v84
	v_bfi_b32 v86, 0xffff, v91, v88
	v_pk_fma_f16 v93, 0x3bf1b94e, v16, v92 op_sel:[0,0,1] op_sel_hi:[1,1,0]
	v_pk_fma_f16 v92, 0x3bf1b94e, v16, v92 op_sel:[0,0,1] op_sel_hi:[1,1,0] neg_lo:[0,1,0] neg_hi:[0,1,0]
	v_mul_f16_sdwa v74, v23, v74 dst_sel:DWORD dst_unused:UNUSED_PAD src0_sel:WORD_1 src1_sel:DWORD
	v_add_f16_e32 v58, v90, v58
	v_pk_add_f16 v84, v86, v84
	v_mul_f16_sdwa v30, v21, v30 dst_sel:DWORD dst_unused:UNUSED_PAD src0_sel:WORD_1 src1_sel:DWORD
	v_bfi_b32 v86, 0xffff, v93, v92
	v_fma_f16 v90, v26, 0x3b15, -v74
	v_mul_f16_sdwa v56, v19, v56 dst_sel:DWORD dst_unused:UNUSED_PAD src0_sel:WORD_1 src1_sel:DWORD
	v_fma_f16 v15, v32, 0xb9fd, -v15
	v_mul_f16_sdwa v47, v18, v47 dst_sel:DWORD dst_unused:UNUSED_PAD src0_sel:WORD_1 src1_sel:DWORD
	v_pk_add_f16 v84, v86, v84
	v_add_f16_e32 v86, v6, v90
	v_fma_f16 v90, v25, 0x388b, -v30
	v_add_f16_sdwa v15, v6, v15 dst_sel:DWORD dst_unused:UNUSED_PAD src0_sel:WORD_1 src1_sel:DWORD
	v_fma_f16 v33, v34, 0x2fb7, -v33
	v_mul_f16_sdwa v28, v16, v28 dst_sel:DWORD dst_unused:UNUSED_PAD src0_sel:WORD_1 src1_sel:DWORD
	v_fma_f16 v14, v35, 0x388b, -v14
	v_add_f16_e32 v86, v90, v86
	v_fma_f16 v90, v24, 0x2fb7, -v56
	v_add_f16_e32 v15, v33, v15
	v_mul_f16_sdwa v69, v7, v69 dst_sel:DWORD dst_unused:UNUSED_PAD src0_sel:WORD_1 src1_sel:DWORD
	v_fmac_f16_e32 v39, 0xb9fd, v26
	v_fmac_f16_e32 v12, 0x2fb7, v25
	v_add_f16_e32 v86, v90, v86
	v_fma_f16 v90, v22, 0xb5ac, -v47
	v_add_f16_e32 v14, v14, v15
	v_fma_f16 v15, v37, 0xbbc4, -v36
	v_fma_f16 v36, v17, 0xbbc4, -v69
	v_add_f16_e32 v39, v6, v39
	v_add_f16_e32 v33, v90, v86
	v_fma_f16 v86, v20, 0xb9fd, -v28
	v_add_f16_e32 v14, v15, v14
	v_fma_f16 v13, v38, 0x3b15, -v13
	v_add_f16_e32 v12, v12, v39
	v_fmac_f16_e32 v29, 0x388b, v24
	v_add_f16_e32 v33, v86, v33
	v_fma_f16 v10, v34, 0xb9fd, -v10
	v_add_f16_e32 v13, v13, v14
	v_fma_f16 v14, v43, 0xb5ac, -v40
	v_add_f16_e32 v12, v29, v12
	v_add_f16_e32 v15, v36, v33
	v_fma_f16 v33, v32, 0xb5ac, -v45
	v_fmac_f16_e32 v11, 0xbbc4, v22
	v_fmac_f16_e32 v46, 0xb5ac, v26
	v_add_f16_e32 v13, v14, v13
	v_fma_f16 v14, v35, 0x3b15, -v50
	v_add_f16_sdwa v33, v6, v33 dst_sel:DWORD dst_unused:UNUSED_PAD src0_sel:WORD_1 src1_sel:DWORD
	v_add_f16_e32 v11, v11, v12
	v_add_f16_e32 v12, v6, v46
	v_fmac_f16_e32 v48, 0xb9fd, v25
	v_fmac_f16_e32 v55, 0x3b15, v24
	v_add_f16_e32 v10, v10, v33
	v_fmac_f16_e32 v68, 0x2fb7, v26
	v_fmac_f16_e32 v57, 0x2fb7, v22
	v_add_f16_e32 v12, v48, v12
	v_fmac_f16_e32 v60, 0xbbc4, v25
	v_add_f16_e32 v10, v14, v10
	v_fma_f16 v14, v37, 0x2fb7, -v53
	v_add_f16_e32 v29, v6, v68
	v_add_f16_e32 v12, v55, v12
	v_fmac_f16_e32 v31, 0xbbc4, v20
	v_fma_f16 v33, v32, 0x2fb7, -v59
	v_add_f16_e32 v10, v14, v10
	v_fma_f16 v14, v38, 0xbbc4, -v49
	v_add_f16_e32 v12, v57, v12
	v_fmac_f16_e32 v64, 0xb5ac, v24
	v_fma_f16 v32, v32, 0x388b, -v71
	v_fmac_f16_e32 v27, 0x3b15, v22
	v_add_f16_e32 v10, v14, v10
	v_fma_f16 v14, v43, 0x388b, -v66
	v_add_f16_e32 v12, v31, v12
	v_fma_f16 v31, v34, 0xbbc4, -v61
	v_add_f16_sdwa v32, v6, v32 dst_sel:DWORD dst_unused:UNUSED_PAD src0_sel:WORD_1 src1_sel:DWORD
	v_fmac_f16_e32 v74, 0x3b15, v26
	v_add_f16_e32 v10, v14, v10
	v_add_f16_e32 v14, v60, v29
	v_add_f16_sdwa v29, v6, v33 dst_sel:DWORD dst_unused:UNUSED_PAD src0_sel:WORD_1 src1_sel:DWORD
	v_fma_f16 v33, v34, 0xb5ac, -v75
	v_fmac_f16_e32 v30, 0x388b, v25
	v_mul_f16_e32 v89, 0x3770, v7
	v_add_f16_e32 v14, v64, v14
	v_add_f16_e32 v29, v31, v29
	v_fma_f16 v31, v35, 0xb5ac, -v65
	v_fma_f16 v36, v38, 0x388b, -v63
	v_fmac_f16_e32 v56, 0x2fb7, v24
	v_add_f16_e32 v14, v27, v14
	v_fmac_f16_e32 v47, 0xb5ac, v22
	v_add_f16_e32 v27, v31, v29
	v_fma_f16 v29, v37, 0x3b15, -v67
	v_add_f16_e32 v31, v33, v32
	v_fma_f16 v32, v35, 0xbbc4, -v77
	v_add_f16_e32 v35, v6, v74
	v_pk_mul_f16 v26, 0xbbc4, v26 op_sel_hi:[0,1]
	v_add_f16_e32 v27, v29, v27
	v_fmac_f16_e32 v28, 0xb9fd, v20
	v_add_f16_e32 v29, v32, v31
	v_fma_f16 v31, v37, 0xb9fd, -v79
	v_fma_f16 v37, v38, 0x2fb7, -v82
	v_pk_add_f16 v38, v6, v76 op_sel:[1,0] op_sel_hi:[0,1]
	v_add_f16_e32 v30, v30, v35
	v_fma_f16 v35, v43, 0x3b15, -v89
	v_add_f16_e32 v29, v31, v29
	v_pk_mul_f16 v25, 0x3b15, v25 op_sel_hi:[0,1]
	v_add_f16_sdwa v32, v6, v72 dst_sel:DWORD dst_unused:UNUSED_PAD src0_sel:WORD_1 src1_sel:DWORD
	v_add_f16_e32 v30, v56, v30
	v_pk_mul_f16 v24, 0xb9fd, v24 op_sel_hi:[0,1]
	v_add_f16_e32 v29, v37, v29
	v_pk_add_f16 v37, v83, v38
	v_fmamk_f16 v94, v43, 0x3b15, v89
	v_add_f16_e32 v30, v47, v30
	v_pk_mul_f16 v22, 0x388b, v22 op_sel_hi:[0,1]
	v_add_f16_e32 v29, v35, v29
	v_pk_add_f16 v35, v87, v37
	v_pk_fma_f16 v37, 0xb3a8, v23, v26 op_sel:[0,0,1] op_sel_hi:[0,1,0] neg_lo:[0,1,0] neg_hi:[0,1,0]
	v_pk_fma_f16 v23, 0xb3a8, v23, v26 op_sel:[0,0,1] op_sel_hi:[0,1,0]
	v_add_f16_e32 v28, v28, v30
	v_pk_fma_f16 v30, 0x3770, v21, v25 op_sel:[0,0,1] op_sel_hi:[0,1,0] neg_lo:[0,1,0] neg_hi:[0,1,0]
	v_pk_fma_f16 v21, 0x3770, v21, v25 op_sel:[0,0,1] op_sel_hi:[0,1,0]
	v_pk_add_f16 v26, v6, v37 op_sel:[1,0] op_sel_hi:[0,1]
	v_pk_add_f16 v6, v6, v23 op_sel:[1,0] op_sel_hi:[0,1]
	v_add_f16_e32 v73, v94, v73
	v_pk_mul_f16 v94, 0xbbc43b15, v17
	v_fmac_f16_e32 v44, 0x3b15, v20
	v_pk_add_f16 v25, v30, v26
	v_pk_fma_f16 v26, 0xb94e, v19, v24 op_sel:[0,0,1] op_sel_hi:[0,1,0] neg_lo:[0,1,0] neg_hi:[0,1,0]
	v_pk_add_f16 v6, v21, v6
	v_pk_fma_f16 v19, 0xb94e, v19, v24 op_sel:[0,0,1] op_sel_hi:[0,1,0]
	v_fmac_f16_e32 v78, 0x388b, v20
	v_mul_f16_e32 v31, 0xb94e, v7
	v_pk_add_f16 v35, v91, v35
	v_pk_add_f16 v24, v26, v25
	v_pk_fma_f16 v25, 0x3a95, v18, v22 op_sel:[0,0,1] op_sel_hi:[0,1,0] neg_lo:[0,1,0] neg_hi:[0,1,0]
	v_pk_mul_f16 v20, 0xb5ac, v20 op_sel_hi:[0,1]
	v_pk_add_f16 v6, v19, v6
	v_pk_fma_f16 v18, 0x3a95, v18, v22 op_sel:[0,0,1] op_sel_hi:[0,1,0]
	v_add_f16_e32 v32, v81, v32
	v_pk_fma_f16 v95, 0x3770b3a8, v7, v94 op_sel:[0,0,1] op_sel_hi:[1,1,0]
	v_pk_fma_f16 v96, 0x3770b3a8, v7, v94 op_sel:[0,0,1] op_sel_hi:[1,1,0] neg_lo:[0,1,0] neg_hi:[0,1,0]
	v_pk_mul_f16 v34, 0x3770b3a8, v7
	v_pk_fma_f16 v22, 0xbb7b, v16, v20 op_sel:[0,0,1] op_sel_hi:[0,1,0] neg_lo:[0,1,0] neg_hi:[0,1,0]
	v_pk_add_f16 v6, v18, v6
	v_pk_fma_f16 v16, 0xbb7b, v16, v20 op_sel:[0,0,1] op_sel_hi:[0,1,0]
	v_bfi_b32 v18, 0xffff, v31, v35
	v_add_f16_e32 v32, v85, v32
	v_bfi_b32 v95, 0xffff, v95, v96
	v_fmac_f16_e32 v51, 0xb5ac, v17
	v_fmac_f16_e32 v62, 0x388b, v17
	;; [unrolled: 1-line block ×4, first 2 shown]
	v_pk_add_f16 v19, v25, v24
	v_pk_mul_f16 v17, 0x2fb7, v17 op_sel_hi:[0,1]
	v_pk_add_f16 v6, v16, v6
	v_pk_add_f16 v16, v70, v18 neg_lo:[0,1] neg_hi:[0,1]
	v_pk_add_f16 v18, v93, v35
	v_pack_b32_f16 v24, v36, v94
	v_bfi_b32 v25, 0xffff, v27, v34
	v_add_f16_e32 v32, v88, v32
	v_pk_add_f16 v84, v95, v84
	v_pk_add_f16 v19, v22, v19
	v_pk_fma_f16 v22, 0x3bf1, v7, v17 op_sel:[0,0,1] op_sel_hi:[0,1,0] neg_lo:[0,1,0] neg_hi:[0,1,0]
	v_pk_fma_f16 v7, 0x3bf1, v7, v17 op_sel:[0,0,1] op_sel_hi:[0,1,0]
	v_add_f16_e32 v11, v44, v11
	v_add_f16_e32 v14, v78, v14
	v_bfi_b32 v16, 0xffff, v16, v18
	v_pk_add_f16 v18, v24, v25
	v_add_f16_e32 v32, v92, v32
	v_mad_u32_u24 v33, v5, 48, v0
	v_alignbit_b32 v21, v73, v84, 16
	v_pack_b32_f16 v15, v15, v84
	v_pk_add_f16 v19, v22, v19
	v_pk_add_f16 v6, v7, v6
	v_add_f16_e32 v11, v51, v11
	v_add_f16_e32 v12, v62, v12
	v_pack_b32_f16 v20, v52, v42
	v_pack_b32_f16 v17, v58, v54
	v_add_f16_e32 v14, v80, v14
	v_pack_b32_f16 v7, v41, v9
	v_pk_add_f16 v9, v16, v18
	v_add_f16_e32 v32, v96, v32
	v_add_f16_e32 v23, v69, v28
	ds_write2_b32 v33, v15, v21 offset0:1 offset1:2
	ds_write2_b32 v33, v17, v20 offset0:3 offset1:4
	v_alignbit_b32 v15, v19, v6, 16
	v_alignbit_b32 v6, v6, v19, 16
	v_pack_b32_f16 v10, v12, v10
	v_pack_b32_f16 v11, v11, v13
	v_alignbit_b32 v12, v29, v9, 16
	v_pack_b32_f16 v9, v14, v9
	v_pack_b32_f16 v13, v23, v32
	ds_write2_b32 v33, v8, v7 offset1:5
	ds_write2_b32 v33, v6, v15 offset0:6 offset1:7
	ds_write2_b32 v33, v11, v10 offset0:8 offset1:9
	;; [unrolled: 1-line block ×3, first 2 shown]
	ds_write_b32 v33, v13 offset:48
.LBB0_15:
	s_or_b32 exec_lo, exec_lo, s1
	v_add_nc_u16 v17, v5, 0x68
	v_add_nc_u32_e32 v21, 0x138, v5
	v_mov_b32_e32 v6, 0x4ec5
	v_add_nc_u32_e32 v22, 0xd0, v5
	v_and_b32_e32 v8, 0xff, v5
	v_and_b32_e32 v7, 0xff, v17
	v_mov_b32_e32 v28, 2
	v_mul_u32_u24_sdwa v23, v21, v6 dst_sel:DWORD dst_unused:UNUSED_PAD src0_sel:WORD_0 src1_sel:DWORD
	v_mul_u32_u24_sdwa v24, v22, v6 dst_sel:DWORD dst_unused:UNUSED_PAD src0_sel:WORD_0 src1_sel:DWORD
	v_mul_lo_u16 v19, 0x4f, v8
	v_mul_lo_u16 v18, 0x4f, v7
	s_load_dwordx2 s[2:3], s[2:3], 0x0
	v_lshrrev_b32_e32 v20, 18, v23
	v_lshrrev_b32_e32 v25, 18, v24
	v_lshrrev_b16 v27, 10, v19
	v_lshrrev_b16 v26, 10, v18
	s_waitcnt lgkmcnt(0)
	v_mul_lo_u16 v6, v20, 13
	v_mul_lo_u16 v7, v25, 13
	v_mul_lo_u16 v9, v27, 13
	v_mul_lo_u16 v8, v26, 13
	s_barrier
	v_sub_nc_u16 v6, v21, v6
	v_sub_nc_u16 v7, v22, v7
	;; [unrolled: 1-line block ×4, first 2 shown]
	buffer_gl0_inv
	v_lshlrev_b32_sdwa v29, v28, v6 dst_sel:DWORD dst_unused:UNUSED_PAD src0_sel:DWORD src1_sel:WORD_0
	v_lshlrev_b32_sdwa v30, v28, v7 dst_sel:DWORD dst_unused:UNUSED_PAD src0_sel:DWORD src1_sel:WORD_0
	v_lshlrev_b32_sdwa v32, v28, v9 dst_sel:DWORD dst_unused:UNUSED_PAD src0_sel:DWORD src1_sel:BYTE_0
	v_lshlrev_b32_sdwa v31, v28, v8 dst_sel:DWORD dst_unused:UNUSED_PAD src0_sel:DWORD src1_sel:BYTE_0
	v_add_nc_u32_e32 v9, 0x600, v0
	v_add_nc_u32_e32 v8, 0x200, v0
	s_clause 0x3
	global_load_dword v33, v29, s[12:13]
	global_load_dword v34, v30, s[12:13]
	;; [unrolled: 1-line block ×4, first 2 shown]
	v_add_nc_u32_e32 v10, 0x800, v0
	ds_read2_b32 v[6:7], v0 offset1:104
	ds_read2_b32 v[11:12], v9 offset0:32 offset1:136
	ds_read2_b32 v[13:14], v8 offset0:80 offset1:184
	;; [unrolled: 1-line block ×3, first 2 shown]
	v_lshrrev_b16 v40, 11, v18
	v_mov_b32_e32 v37, 0x68
	v_mul_u32_u24_e32 v25, 0x68, v25
	v_mul_u32_u24_e32 v20, 0x68, v20
	v_lshrrev_b32_e32 v39, 19, v23
	v_mul_lo_u16 v44, v40, 26
	v_mul_u32_u24_sdwa v27, v27, v37 dst_sel:DWORD dst_unused:UNUSED_PAD src0_sel:WORD_0 src1_sel:DWORD
	v_mul_u32_u24_sdwa v26, v26, v37 dst_sel:DWORD dst_unused:UNUSED_PAD src0_sel:WORD_0 src1_sel:DWORD
	v_add3_u32 v25, 0, v25, v30
	v_add3_u32 v20, 0, v20, v29
	v_sub_nc_u16 v37, v17, v44
	v_add3_u32 v27, 0, v27, v32
	v_lshrrev_b32_e32 v38, 19, v24
	v_lshrrev_b16 v19, 11, v19
	v_mul_lo_u16 v43, v39, 26
	v_add3_u32 v26, 0, v26, v31
	v_lshlrev_b32_sdwa v37, v28, v37 dst_sel:DWORD dst_unused:UNUSED_PAD src0_sel:DWORD src1_sel:BYTE_0
	v_mul_lo_u16 v42, v38, 26
	v_mul_lo_u16 v41, v19, 26
	v_sub_nc_u16 v43, v21, v43
	s_waitcnt vmcnt(0) lgkmcnt(0)
	s_barrier
	v_sub_nc_u16 v42, v22, v42
	v_sub_nc_u16 v41, v5, v41
	v_lshlrev_b32_sdwa v43, v28, v43 dst_sel:DWORD dst_unused:UNUSED_PAD src0_sel:DWORD src1_sel:WORD_0
	buffer_gl0_inv
	v_cmp_gt_u32_e64 s0, 52, v5
	v_lshlrev_b32_sdwa v42, v28, v42 dst_sel:DWORD dst_unused:UNUSED_PAD src0_sel:DWORD src1_sel:WORD_0
	v_lshlrev_b32_sdwa v41, v28, v41 dst_sel:DWORD dst_unused:UNUSED_PAD src0_sel:DWORD src1_sel:BYTE_0
	v_lshrrev_b32_e32 v31, 20, v23
	s_add_u32 s1, s12, 0xccc
	s_addc_u32 s4, s13, 0
	s_mov_b32 s5, exec_lo
	v_pk_mul_f16 v29, v33, v16 op_sel:[0,1]
	v_pk_mul_f16 v30, v34, v15 op_sel:[0,1]
	;; [unrolled: 1-line block ×4, first 2 shown]
	v_pk_fma_f16 v45, v33, v16, v29 op_sel:[0,0,1] op_sel_hi:[1,1,0] neg_lo:[0,0,1] neg_hi:[0,0,1]
	v_pk_fma_f16 v46, v34, v15, v30 op_sel:[0,0,1] op_sel_hi:[1,1,0] neg_lo:[0,0,1] neg_hi:[0,0,1]
	;; [unrolled: 1-line block ×4, first 2 shown]
	v_pk_fma_f16 v11, v36, v11, v44 op_sel:[0,0,1] op_sel_hi:[1,0,0]
	v_pk_fma_f16 v12, v35, v12, v32 op_sel:[0,0,1] op_sel_hi:[1,0,0]
	v_pk_fma_f16 v15, v34, v15, v30 op_sel:[0,0,1] op_sel_hi:[1,0,0]
	v_pk_fma_f16 v16, v33, v16, v29 op_sel:[0,0,1] op_sel_hi:[1,0,0]
	v_lshrrev_b32_e32 v30, 20, v24
	v_bfi_b32 v11, 0xffff, v48, v11
	v_bfi_b32 v12, 0xffff, v47, v12
	;; [unrolled: 1-line block ×4, first 2 shown]
	v_lshrrev_b16 v33, 12, v18
	v_pk_add_f16 v11, v6, v11 neg_lo:[0,1] neg_hi:[0,1]
	v_pk_add_f16 v12, v7, v12 neg_lo:[0,1] neg_hi:[0,1]
	;; [unrolled: 1-line block ×4, first 2 shown]
	v_mul_lo_u16 v18, v30, 52
	v_pk_fma_f16 v6, v6, 2.0, v11 op_sel_hi:[1,0,1] neg_lo:[0,0,1] neg_hi:[0,0,1]
	v_pk_fma_f16 v7, v7, 2.0, v12 op_sel_hi:[1,0,1] neg_lo:[0,0,1] neg_hi:[0,0,1]
	;; [unrolled: 1-line block ×4, first 2 shown]
	ds_write2_b32 v27, v6, v11 offset1:13
	ds_write2_b32 v26, v7, v12 offset1:13
	;; [unrolled: 1-line block ×4, first 2 shown]
	s_waitcnt lgkmcnt(0)
	s_barrier
	buffer_gl0_inv
	s_clause 0x3
	global_load_dword v25, v43, s[12:13] offset:52
	global_load_dword v26, v42, s[12:13] offset:52
	;; [unrolled: 1-line block ×4, first 2 shown]
	ds_read2_b32 v[15:16], v9 offset0:32 offset1:136
	ds_read2_b32 v[13:14], v10 offset0:112 offset1:216
	v_mov_b32_e32 v20, 0xd0
	v_mul_lo_u16 v36, v33, 52
	v_sub_nc_u16 v18, v22, v18
	v_mul_u32_u24_e32 v32, 0xd0, v38
	v_mul_u32_u24_e32 v35, 0xd0, v39
	v_mul_u32_u24_sdwa v19, v19, v20 dst_sel:DWORD dst_unused:UNUSED_PAD src0_sel:WORD_0 src1_sel:DWORD
	v_mul_u32_u24_sdwa v38, v40, v20 dst_sel:DWORD dst_unused:UNUSED_PAD src0_sel:WORD_0 src1_sel:DWORD
	v_sub_nc_u16 v36, v17, v36
	v_lshlrev_b32_sdwa v39, v28, v18 dst_sel:DWORD dst_unused:UNUSED_PAD src0_sel:DWORD src1_sel:WORD_0
	v_add3_u32 v35, 0, v35, v43
	v_add3_u32 v40, 0, v19, v41
	ds_read2_b32 v[17:18], v0 offset1:104
	ds_read2_b32 v[19:20], v8 offset0:80 offset1:184
	v_add3_u32 v32, 0, v32, v42
	v_subrev_nc_u32_e32 v6, 52, v5
	v_mov_b32_e32 v12, 0
	v_mul_lo_u16 v34, v31, 52
	v_lshlrev_b32_sdwa v36, v28, v36 dst_sel:DWORD dst_unused:UNUSED_PAD src0_sel:DWORD src1_sel:BYTE_0
	s_waitcnt vmcnt(0) lgkmcnt(0)
	v_cndmask_b32_e64 v11, v6, v5, s0
	s_barrier
	v_sub_nc_u16 v34, v21, v34
	buffer_gl0_inv
	v_lshlrev_b64 v[6:7], 2, v[11:12]
	v_lshlrev_b32_sdwa v34, v28, v34 dst_sel:DWORD dst_unused:UNUSED_PAD src0_sel:DWORD src1_sel:WORD_0
	v_add_co_u32 v6, s0, s12, v6
	v_add_co_ci_u32_e64 v7, s0, s13, v7, s0
	v_cmp_lt_u32_e64 s0, 51, v5
	v_pk_mul_f16 v41, v25, v14 op_sel:[0,1]
	v_pk_mul_f16 v42, v26, v13 op_sel:[0,1]
	;; [unrolled: 1-line block ×4, first 2 shown]
	v_pk_fma_f16 v45, v25, v14, v41 op_sel:[0,0,1] op_sel_hi:[1,1,0] neg_lo:[0,0,1] neg_hi:[0,0,1]
	v_pk_fma_f16 v46, v26, v13, v42 op_sel:[0,0,1] op_sel_hi:[1,1,0] neg_lo:[0,0,1] neg_hi:[0,0,1]
	v_pk_fma_f16 v47, v27, v16, v43 op_sel:[0,0,1] op_sel_hi:[1,1,0] neg_lo:[0,0,1] neg_hi:[0,0,1]
	v_pk_fma_f16 v48, v29, v15, v44 op_sel:[0,0,1] op_sel_hi:[1,1,0] neg_lo:[0,0,1] neg_hi:[0,0,1]
	v_pk_fma_f16 v15, v29, v15, v44 op_sel:[0,0,1] op_sel_hi:[1,0,0]
	v_pk_fma_f16 v16, v27, v16, v43 op_sel:[0,0,1] op_sel_hi:[1,0,0]
	;; [unrolled: 1-line block ×4, first 2 shown]
	v_add3_u32 v25, 0, v38, v37
	v_bfi_b32 v15, 0xffff, v48, v15
	v_bfi_b32 v16, 0xffff, v47, v16
	;; [unrolled: 1-line block ×4, first 2 shown]
	v_pk_add_f16 v15, v17, v15 neg_lo:[0,1] neg_hi:[0,1]
	v_pk_add_f16 v16, v18, v16 neg_lo:[0,1] neg_hi:[0,1]
	v_pk_add_f16 v13, v19, v13 neg_lo:[0,1] neg_hi:[0,1]
	v_pk_add_f16 v14, v20, v14 neg_lo:[0,1] neg_hi:[0,1]
	v_pk_fma_f16 v17, v17, 2.0, v15 op_sel_hi:[1,0,1] neg_lo:[0,0,1] neg_hi:[0,0,1]
	v_pk_fma_f16 v18, v18, 2.0, v16 op_sel_hi:[1,0,1] neg_lo:[0,0,1] neg_hi:[0,0,1]
	v_pk_fma_f16 v19, v19, 2.0, v13 op_sel_hi:[1,0,1] neg_lo:[0,0,1] neg_hi:[0,0,1]
	v_pk_fma_f16 v20, v20, 2.0, v14 op_sel_hi:[1,0,1] neg_lo:[0,0,1] neg_hi:[0,0,1]
	ds_write2_b32 v40, v17, v15 offset1:26
	ds_write2_b32 v25, v18, v16 offset1:26
	;; [unrolled: 1-line block ×4, first 2 shown]
	s_waitcnt lgkmcnt(0)
	s_barrier
	buffer_gl0_inv
	s_clause 0x3
	global_load_dword v25, v34, s[12:13] offset:156
	global_load_dword v26, v39, s[12:13] offset:156
	;; [unrolled: 1-line block ×3, first 2 shown]
	global_load_dword v29, v[6:7], off offset:156
	ds_read2_b32 v[13:14], v9 offset0:32 offset1:136
	v_lshrrev_b32_e32 v18, 21, v24
	v_lshrrev_b32_e32 v19, 21, v23
	v_mov_b32_e32 v6, v12
	v_lshlrev_b32_e32 v16, 2, v11
	ds_read2_b32 v[11:12], v10 offset0:112 offset1:216
	v_mul_lo_u16 v18, 0x68, v18
	v_mul_lo_u16 v19, 0x68, v19
	v_mov_b32_e32 v17, 0x1a0
	v_mul_u32_u24_e32 v20, 0x1a0, v30
	v_mul_u32_u24_e32 v24, 0x1a0, v31
	v_sub_nc_u16 v18, v22, v18
	v_sub_nc_u16 v19, v21, v19
	v_mul_u32_u24_sdwa v21, v33, v17 dst_sel:DWORD dst_unused:UNUSED_PAD src0_sel:WORD_0 src1_sel:DWORD
	v_add3_u32 v30, 0, v20, v39
	v_add3_u32 v24, 0, v24, v34
	v_lshlrev_b32_sdwa v22, v28, v18 dst_sel:DWORD dst_unused:UNUSED_PAD src0_sel:DWORD src1_sel:WORD_0
	v_lshlrev_b32_sdwa v28, v28, v19 dst_sel:DWORD dst_unused:UNUSED_PAD src0_sel:DWORD src1_sel:WORD_0
	ds_read2_b32 v[17:18], v0 offset1:104
	ds_read2_b32 v[19:20], v8 offset0:80 offset1:184
	v_lshlrev_b64 v[6:7], 2, v[5:6]
	v_cndmask_b32_e64 v15, 0, 0x1a0, s0
	v_add3_u32 v21, 0, v21, v36
	s_waitcnt vmcnt(0) lgkmcnt(0)
	s_barrier
	buffer_gl0_inv
	v_add3_u32 v23, 0, v15, v16
	v_add_co_u32 v15, s0, s12, v6
	v_add_co_ci_u32_e64 v16, s0, s13, v7, s0
	v_pk_mul_f16 v31, v25, v12 op_sel:[0,1]
	v_pk_mul_f16 v32, v26, v11 op_sel:[0,1]
	;; [unrolled: 1-line block ×4, first 2 shown]
	v_pk_fma_f16 v34, v25, v12, v31 op_sel:[0,0,1] op_sel_hi:[1,1,0] neg_lo:[0,0,1] neg_hi:[0,0,1]
	v_pk_fma_f16 v37, v26, v11, v32 op_sel:[0,0,1] op_sel_hi:[1,1,0] neg_lo:[0,0,1] neg_hi:[0,0,1]
	;; [unrolled: 1-line block ×4, first 2 shown]
	v_pk_fma_f16 v13, v29, v13, v35 op_sel:[0,0,1] op_sel_hi:[1,0,0]
	v_pk_fma_f16 v14, v27, v14, v33 op_sel:[0,0,1] op_sel_hi:[1,0,0]
	;; [unrolled: 1-line block ×4, first 2 shown]
	v_bfi_b32 v13, 0xffff, v39, v13
	v_bfi_b32 v14, 0xffff, v38, v14
	;; [unrolled: 1-line block ×4, first 2 shown]
	v_pk_add_f16 v13, v17, v13 neg_lo:[0,1] neg_hi:[0,1]
	v_pk_add_f16 v14, v18, v14 neg_lo:[0,1] neg_hi:[0,1]
	;; [unrolled: 1-line block ×4, first 2 shown]
	v_pk_fma_f16 v17, v17, 2.0, v13 op_sel_hi:[1,0,1] neg_lo:[0,0,1] neg_hi:[0,0,1]
	v_pk_fma_f16 v18, v18, 2.0, v14 op_sel_hi:[1,0,1] neg_lo:[0,0,1] neg_hi:[0,0,1]
	;; [unrolled: 1-line block ×4, first 2 shown]
	ds_write2_b32 v23, v17, v13 offset1:52
	ds_write2_b32 v21, v18, v14 offset1:52
	;; [unrolled: 1-line block ×4, first 2 shown]
	s_waitcnt lgkmcnt(0)
	s_barrier
	buffer_gl0_inv
	s_clause 0x2
	global_load_dword v21, v[15:16], off offset:364
	global_load_dword v23, v28, s[12:13] offset:364
	global_load_dword v24, v22, s[12:13] offset:364
	ds_read2_b32 v[11:12], v9 offset0:32 offset1:136
	ds_read2_b32 v[13:14], v10 offset0:112 offset1:216
	v_add_nc_u32_e32 v17, 0, v22
	ds_read2_b32 v[19:20], v8 offset0:80 offset1:184
	v_add_nc_u32_e32 v22, 0, v28
	v_add_nc_u32_e32 v25, 0x600, v17
	ds_read2_b32 v[17:18], v0 offset1:104
	v_add_nc_u32_e32 v22, 0x800, v22
	s_waitcnt vmcnt(0) lgkmcnt(0)
	s_barrier
	buffer_gl0_inv
	v_pk_mul_f16 v26, v21, v11 op_sel:[0,1]
	v_pk_mul_f16 v27, v21, v12 op_sel:[0,1]
	v_pk_mul_f16 v29, v24, v13 op_sel:[0,1]
	v_pk_mul_f16 v28, v23, v14 op_sel:[0,1]
	v_pk_fma_f16 v30, v21, v11, v26 op_sel:[0,0,1] op_sel_hi:[1,1,0] neg_lo:[0,0,1] neg_hi:[0,0,1]
	v_pk_fma_f16 v11, v21, v11, v26 op_sel:[0,0,1] op_sel_hi:[1,0,0]
	v_pk_fma_f16 v26, v21, v12, v27 op_sel:[0,0,1] op_sel_hi:[1,1,0] neg_lo:[0,0,1] neg_hi:[0,0,1]
	v_pk_fma_f16 v12, v21, v12, v27 op_sel:[0,0,1] op_sel_hi:[1,0,0]
	;; [unrolled: 2-line block ×4, first 2 shown]
	v_bfi_b32 v11, 0xffff, v30, v11
	v_bfi_b32 v12, 0xffff, v26, v12
	;; [unrolled: 1-line block ×4, first 2 shown]
	v_pk_add_f16 v11, v17, v11 neg_lo:[0,1] neg_hi:[0,1]
	v_pk_add_f16 v12, v18, v12 neg_lo:[0,1] neg_hi:[0,1]
	;; [unrolled: 1-line block ×4, first 2 shown]
	v_pk_fma_f16 v17, v17, 2.0, v11 op_sel_hi:[1,0,1] neg_lo:[0,0,1] neg_hi:[0,0,1]
	v_pk_fma_f16 v18, v18, 2.0, v12 op_sel_hi:[1,0,1] neg_lo:[0,0,1] neg_hi:[0,0,1]
	;; [unrolled: 1-line block ×4, first 2 shown]
	ds_write2_b32 v0, v17, v11 offset1:104
	ds_write2_b32 v8, v18, v12 offset0:80 offset1:184
	ds_write2_b32 v25, v19, v13 offset0:32 offset1:136
	;; [unrolled: 1-line block ×3, first 2 shown]
	s_waitcnt lgkmcnt(0)
	s_barrier
	buffer_gl0_inv
	s_clause 0x1
	global_load_dword v21, v[15:16], off offset:780
	global_load_dword v22, v[15:16], off offset:1196
	ds_read2_b32 v[11:12], v9 offset0:32 offset1:136
	ds_read2_b32 v[13:14], v10 offset0:112 offset1:216
	ds_read2_b32 v[17:18], v0 offset1:104
	ds_read2_b32 v[19:20], v8 offset0:80 offset1:184
	s_waitcnt vmcnt(0) lgkmcnt(0)
	s_barrier
	buffer_gl0_inv
	v_pk_mul_f16 v23, v21, v11 op_sel:[0,1]
	v_pk_mul_f16 v24, v22, v12 op_sel:[0,1]
	;; [unrolled: 1-line block ×4, first 2 shown]
	v_pk_fma_f16 v27, v21, v11, v23 op_sel:[0,0,1] op_sel_hi:[1,1,0] neg_lo:[0,0,1] neg_hi:[0,0,1]
	v_pk_fma_f16 v23, v21, v11, v23 op_sel:[0,0,1] op_sel_hi:[1,0,0]
	v_pk_fma_f16 v28, v22, v12, v24 op_sel:[0,0,1] op_sel_hi:[1,1,0] neg_lo:[0,0,1] neg_hi:[0,0,1]
	v_pk_fma_f16 v24, v22, v12, v24 op_sel:[0,0,1] op_sel_hi:[1,0,0]
	;; [unrolled: 2-line block ×4, first 2 shown]
	v_bfi_b32 v22, 0xffff, v27, v23
	v_bfi_b32 v23, 0xffff, v28, v24
	;; [unrolled: 1-line block ×3, first 2 shown]
	v_add_co_u32 v11, s0, 0x800, v15
	v_bfi_b32 v14, 0xffff, v21, v14
	v_pk_add_f16 v21, v17, v22 neg_lo:[0,1] neg_hi:[0,1]
	v_pk_add_f16 v22, v18, v23 neg_lo:[0,1] neg_hi:[0,1]
	;; [unrolled: 1-line block ×3, first 2 shown]
	v_add_co_ci_u32_e64 v12, s0, 0, v16, s0
	v_pk_add_f16 v14, v20, v14 neg_lo:[0,1] neg_hi:[0,1]
	v_pk_fma_f16 v17, v17, 2.0, v21 op_sel_hi:[1,0,1] neg_lo:[0,0,1] neg_hi:[0,0,1]
	v_pk_fma_f16 v18, v18, 2.0, v22 op_sel_hi:[1,0,1] neg_lo:[0,0,1] neg_hi:[0,0,1]
	;; [unrolled: 1-line block ×4, first 2 shown]
	ds_write2_b32 v8, v21, v22 offset0:80 offset1:184
	ds_write2_b32 v10, v13, v14 offset0:112 offset1:216
	ds_write2_b32 v0, v17, v18 offset1:104
	ds_write2_b32 v9, v19, v20 offset0:32 offset1:136
	s_waitcnt lgkmcnt(0)
	s_barrier
	buffer_gl0_inv
	s_clause 0x3
	global_load_dword v19, v[15:16], off offset:1612
	global_load_dword v20, v[15:16], off offset:2028
	;; [unrolled: 1-line block ×4, first 2 shown]
	ds_read2_b32 v[11:12], v9 offset0:32 offset1:136
	ds_read2_b32 v[13:14], v10 offset0:112 offset1:216
	ds_read2_b32 v[15:16], v0 offset1:104
	ds_read2_b32 v[17:18], v8 offset0:80 offset1:184
	s_waitcnt vmcnt(0) lgkmcnt(0)
	s_barrier
	buffer_gl0_inv
	v_pk_mul_f16 v23, v19, v11 op_sel:[0,1]
	v_pk_mul_f16 v24, v20, v12 op_sel:[0,1]
	v_pk_mul_f16 v25, v21, v13 op_sel:[0,1]
	v_pk_mul_f16 v26, v22, v14 op_sel:[0,1]
	v_pk_fma_f16 v27, v19, v11, v23 op_sel:[0,0,1] op_sel_hi:[1,1,0] neg_lo:[0,0,1] neg_hi:[0,0,1]
	v_pk_fma_f16 v11, v19, v11, v23 op_sel:[0,0,1] op_sel_hi:[1,0,0]
	v_pk_fma_f16 v19, v20, v12, v24 op_sel:[0,0,1] op_sel_hi:[1,1,0] neg_lo:[0,0,1] neg_hi:[0,0,1]
	v_pk_fma_f16 v12, v20, v12, v24 op_sel:[0,0,1] op_sel_hi:[1,0,0]
	;; [unrolled: 2-line block ×4, first 2 shown]
	v_bfi_b32 v11, 0xffff, v27, v11
	v_bfi_b32 v12, 0xffff, v19, v12
	;; [unrolled: 1-line block ×4, first 2 shown]
	v_pk_add_f16 v11, v15, v11 neg_lo:[0,1] neg_hi:[0,1]
	v_pk_add_f16 v12, v16, v12 neg_lo:[0,1] neg_hi:[0,1]
	v_pk_add_f16 v13, v17, v13 neg_lo:[0,1] neg_hi:[0,1]
	v_pk_add_f16 v14, v18, v14 neg_lo:[0,1] neg_hi:[0,1]
	v_pk_fma_f16 v15, v15, 2.0, v11 op_sel_hi:[1,0,1] neg_lo:[0,0,1] neg_hi:[0,0,1]
	v_pk_fma_f16 v16, v16, 2.0, v12 op_sel_hi:[1,0,1] neg_lo:[0,0,1] neg_hi:[0,0,1]
	;; [unrolled: 1-line block ×4, first 2 shown]
	ds_write2_b32 v9, v11, v12 offset0:32 offset1:136
	ds_write2_b32 v10, v13, v14 offset0:112 offset1:216
	ds_write2_b32 v0, v15, v16 offset1:104
	ds_write2_b32 v8, v17, v18 offset0:80 offset1:184
	s_waitcnt lgkmcnt(0)
	s_barrier
	buffer_gl0_inv
	ds_read_b32 v12, v0
	v_lshlrev_b32_e32 v8, 2, v5
                                        ; implicit-def: $vgpr11
                                        ; implicit-def: $vgpr9
                                        ; implicit-def: $vgpr10
	v_sub_nc_u32_e32 v8, 0, v8
	v_cmpx_ne_u32_e32 0, v5
	s_xor_b32 s5, exec_lo, s5
	s_cbranch_execz .LBB0_17
; %bb.16:
	v_add_co_u32 v9, s0, s1, v6
	v_add_co_ci_u32_e64 v10, s0, s4, v7, s0
	global_load_dword v9, v[9:10], off
	ds_read_b32 v10, v8 offset:3328
	s_waitcnt lgkmcnt(0)
	v_pk_add_f16 v11, v12, v10 neg_lo:[0,1] neg_hi:[0,1]
	v_pk_add_f16 v10, v10, v12
	v_bfi_b32 v12, 0xffff, v11, v10
	v_bfi_b32 v10, 0xffff, v10, v11
	v_pk_mul_f16 v12, v12, 0.5 op_sel_hi:[1,0]
	v_pk_mul_f16 v13, v10, 0.5 op_sel_hi:[1,0]
	s_waitcnt vmcnt(0)
	v_pk_mul_f16 v11, v9, v12 op_sel:[1,0]
	v_pk_mul_f16 v12, v9, v12 op_sel_hi:[0,1]
	v_pk_fma_f16 v9, v10, 0.5, v11 op_sel_hi:[1,0,1]
	v_sub_f16_e32 v10, v13, v11
	v_sub_f16_sdwa v13, v11, v13 dst_sel:DWORD dst_unused:UNUSED_PAD src0_sel:WORD_1 src1_sel:WORD_1
	v_pk_add_f16 v14, v9, v12 op_sel:[0,1] op_sel_hi:[1,0]
	v_pk_add_f16 v15, v9, v12 op_sel:[0,1] op_sel_hi:[1,0] neg_lo:[0,1] neg_hi:[0,1]
	v_sub_f16_sdwa v9, v10, v12 dst_sel:DWORD dst_unused:UNUSED_PAD src0_sel:DWORD src1_sel:WORD_1
	v_sub_f16_e32 v10, v13, v12
                                        ; implicit-def: $vgpr12
	v_bfi_b32 v11, 0xffff, v14, v15
.LBB0_17:
	s_andn2_saveexec_b32 s0, s5
	s_cbranch_execz .LBB0_19
; %bb.18:
	v_mov_b32_e32 v10, 0
	s_waitcnt lgkmcnt(0)
	v_alignbit_b32 v9, s0, v12, 16
	ds_read_u16 v11, v10 offset:1666
	v_pk_add_f16 v13, v9, v12
	v_sub_f16_sdwa v9, v12, v12 dst_sel:DWORD dst_unused:UNUSED_PAD src0_sel:DWORD src1_sel:WORD_1
	s_waitcnt lgkmcnt(0)
	v_xor_b32_e32 v12, 0x8000, v11
	v_pack_b32_f16 v11, v13, 0
	ds_write_b16 v10, v12 offset:1666
.LBB0_19:
	s_or_b32 exec_lo, exec_lo, s0
	v_add_co_u32 v6, s0, s1, v6
	v_add_co_ci_u32_e64 v7, s0, s4, v7, s0
	s_waitcnt lgkmcnt(0)
	s_clause 0x2
	global_load_dword v12, v[6:7], off offset:416
	global_load_dword v13, v[6:7], off offset:832
	;; [unrolled: 1-line block ×3, first 2 shown]
	ds_write_b16 v8, v10 offset:3330
	ds_write_b32 v0, v11
	ds_write_b16 v8, v9 offset:3328
	ds_read_b32 v7, v0 offset:416
	ds_read_b32 v9, v8 offset:2912
	s_waitcnt lgkmcnt(0)
	v_pk_add_f16 v10, v7, v9 neg_lo:[0,1] neg_hi:[0,1]
	v_pk_add_f16 v7, v7, v9
	v_bfi_b32 v9, 0xffff, v10, v7
	v_bfi_b32 v7, 0xffff, v7, v10
	v_pk_mul_f16 v9, v9, 0.5 op_sel_hi:[1,0]
	v_pk_mul_f16 v11, v7, 0.5 op_sel_hi:[1,0]
	s_waitcnt vmcnt(2)
	v_pk_mul_f16 v10, v12, v9 op_sel:[1,0]
	v_pk_mul_f16 v9, v12, v9 op_sel_hi:[0,1]
	v_pk_fma_f16 v7, v7, 0.5, v10 op_sel_hi:[1,0,1]
	v_sub_f16_sdwa v12, v10, v11 dst_sel:DWORD dst_unused:UNUSED_PAD src0_sel:WORD_1 src1_sel:WORD_1
	v_sub_f16_e32 v10, v11, v10
	v_pk_add_f16 v14, v7, v9 op_sel:[0,1] op_sel_hi:[1,0]
	v_pk_add_f16 v7, v7, v9 op_sel:[0,1] op_sel_hi:[1,0] neg_lo:[0,1] neg_hi:[0,1]
	v_sub_f16_e32 v11, v12, v9
	v_sub_f16_sdwa v9, v10, v9 dst_sel:DWORD dst_unused:UNUSED_PAD src0_sel:DWORD src1_sel:WORD_1
	v_bfi_b32 v7, 0xffff, v14, v7
	ds_write_b16 v8, v11 offset:2914
	ds_write_b32 v0, v7 offset:416
	ds_write_b16 v8, v9 offset:2912
	ds_read_b32 v7, v0 offset:832
	ds_read_b32 v9, v8 offset:2496
	s_waitcnt lgkmcnt(0)
	v_pk_add_f16 v10, v7, v9 neg_lo:[0,1] neg_hi:[0,1]
	v_pk_add_f16 v7, v7, v9
	v_bfi_b32 v9, 0xffff, v10, v7
	v_bfi_b32 v7, 0xffff, v7, v10
	v_pk_mul_f16 v9, v9, 0.5 op_sel_hi:[1,0]
	v_pk_mul_f16 v7, v7, 0.5 op_sel_hi:[1,0]
	s_waitcnt vmcnt(1)
	v_pk_mul_f16 v11, v13, v9 op_sel_hi:[0,1]
	v_pk_fma_f16 v10, v13, v9, v7 op_sel:[1,0,0]
	v_pk_fma_f16 v12, v13, v9, v7 op_sel:[1,0,0] neg_lo:[1,0,0] neg_hi:[1,0,0]
	v_pk_fma_f16 v7, v13, v9, v7 op_sel:[1,0,0] neg_lo:[0,0,1] neg_hi:[0,0,1]
	v_pk_add_f16 v9, v10, v11 op_sel:[0,1] op_sel_hi:[1,0]
	v_pk_add_f16 v10, v10, v11 op_sel:[0,1] op_sel_hi:[1,0] neg_lo:[0,1] neg_hi:[0,1]
	v_pk_add_f16 v12, v12, v11 op_sel:[0,1] op_sel_hi:[1,0] neg_lo:[0,1] neg_hi:[0,1]
	;; [unrolled: 1-line block ×3, first 2 shown]
	v_bfi_b32 v9, 0xffff, v9, v10
	v_bfi_b32 v7, 0xffff, v12, v7
	ds_write_b32 v0, v9 offset:832
	ds_write_b32 v8, v7 offset:2496
	ds_read_b32 v7, v0 offset:1248
	ds_read_b32 v9, v8 offset:2080
	s_waitcnt lgkmcnt(0)
	v_pk_add_f16 v10, v7, v9 neg_lo:[0,1] neg_hi:[0,1]
	v_pk_add_f16 v7, v7, v9
	v_bfi_b32 v9, 0xffff, v10, v7
	v_bfi_b32 v7, 0xffff, v7, v10
	v_pk_mul_f16 v9, v9, 0.5 op_sel_hi:[1,0]
	v_pk_mul_f16 v7, v7, 0.5 op_sel_hi:[1,0]
	s_waitcnt vmcnt(0)
	v_pk_mul_f16 v11, v6, v9 op_sel_hi:[0,1]
	v_pk_fma_f16 v10, v6, v9, v7 op_sel:[1,0,0]
	v_pk_fma_f16 v12, v6, v9, v7 op_sel:[1,0,0] neg_lo:[1,0,0] neg_hi:[1,0,0]
	v_pk_fma_f16 v6, v6, v9, v7 op_sel:[1,0,0] neg_lo:[0,0,1] neg_hi:[0,0,1]
	v_pk_add_f16 v7, v10, v11 op_sel:[0,1] op_sel_hi:[1,0]
	v_pk_add_f16 v9, v10, v11 op_sel:[0,1] op_sel_hi:[1,0] neg_lo:[0,1] neg_hi:[0,1]
	v_pk_add_f16 v10, v12, v11 op_sel:[0,1] op_sel_hi:[1,0] neg_lo:[0,1] neg_hi:[0,1]
	;; [unrolled: 1-line block ×3, first 2 shown]
	v_bfi_b32 v7, 0xffff, v7, v9
	v_bfi_b32 v6, 0xffff, v10, v6
	ds_write_b32 v0, v7 offset:1248
	ds_write_b32 v8, v6 offset:2080
	s_waitcnt lgkmcnt(0)
	s_barrier
	buffer_gl0_inv
	s_and_saveexec_b32 s0, vcc_lo
	s_cbranch_execz .LBB0_22
; %bb.20:
	v_mul_lo_u32 v0, s3, v3
	v_mul_lo_u32 v7, s2, v4
	v_mad_u64_u32 v[3:4], null, s2, v3, 0
	v_lshl_add_u32 v18, v5, 2, 0
	v_mov_b32_e32 v6, 0
	v_add_nc_u32_e32 v10, 0x138, v5
	ds_read2_b32 v[12:13], v18 offset1:104
	v_add3_u32 v4, v4, v7, v0
	v_lshlrev_b64 v[0:1], 2, v[1:2]
	v_add_nc_u32_e32 v2, 0x68, v5
	v_lshlrev_b64 v[14:15], 2, v[5:6]
	v_add_nc_u32_e32 v7, 0xd0, v5
	v_lshlrev_b64 v[8:9], 2, v[3:4]
	v_mov_b32_e32 v3, v6
	v_mov_b32_e32 v11, v6
	v_lshlrev_b64 v[2:3], 2, v[2:3]
	v_add_co_u32 v4, vcc_lo, s10, v8
	v_add_co_ci_u32_e32 v9, vcc_lo, s11, v9, vcc_lo
	v_mov_b32_e32 v8, v6
	v_add_co_u32 v0, vcc_lo, v4, v0
	v_add_nc_u32_e32 v4, 0x200, v18
	v_add_co_ci_u32_e32 v1, vcc_lo, v9, v1, vcc_lo
	v_add_co_u32 v14, vcc_lo, v0, v14
	ds_read2_b32 v[16:17], v4 offset0:80 offset1:184
	v_lshlrev_b64 v[7:8], 2, v[7:8]
	v_add_co_ci_u32_e32 v15, vcc_lo, v1, v15, vcc_lo
	v_add_co_u32 v2, vcc_lo, v0, v2
	v_lshlrev_b64 v[9:10], 2, v[10:11]
	v_add_co_ci_u32_e32 v3, vcc_lo, v1, v3, vcc_lo
	v_add_co_u32 v7, vcc_lo, v0, v7
	v_add_co_ci_u32_e32 v8, vcc_lo, v1, v8, vcc_lo
	v_add_co_u32 v9, vcc_lo, v0, v9
	s_waitcnt lgkmcnt(1)
	global_store_dword v[14:15], v12, off
	v_add_co_ci_u32_e32 v10, vcc_lo, v1, v10, vcc_lo
	v_add_nc_u32_e32 v11, 0x1a0, v5
	v_add_nc_u32_e32 v4, 0x600, v18
	v_mov_b32_e32 v12, v6
	global_store_dword v[2:3], v13, off
	s_waitcnt lgkmcnt(0)
	global_store_dword v[7:8], v16, off
	global_store_dword v[9:10], v17, off
	v_add_nc_u32_e32 v9, 0x208, v5
	v_mov_b32_e32 v10, v6
	ds_read2_b32 v[2:3], v4 offset0:32 offset1:136
	v_lshlrev_b64 v[7:8], 2, v[11:12]
	v_add_nc_u32_e32 v4, 0x800, v18
	v_add_nc_u32_e32 v11, 0x270, v5
	v_lshlrev_b64 v[9:10], 2, v[9:10]
	v_add_nc_u32_e32 v15, 0x2d8, v5
	v_mov_b32_e32 v16, v6
	ds_read2_b32 v[13:14], v4 offset0:112 offset1:216
	v_add_co_u32 v7, vcc_lo, v0, v7
	v_lshlrev_b64 v[11:12], 2, v[11:12]
	v_add_co_ci_u32_e32 v8, vcc_lo, v1, v8, vcc_lo
	v_add_co_u32 v9, vcc_lo, v0, v9
	v_lshlrev_b64 v[15:16], 2, v[15:16]
	v_add_co_ci_u32_e32 v10, vcc_lo, v1, v10, vcc_lo
	v_add_co_u32 v11, vcc_lo, v0, v11
	v_add_co_ci_u32_e32 v12, vcc_lo, v1, v12, vcc_lo
	v_add_co_u32 v15, vcc_lo, v0, v15
	v_add_co_ci_u32_e32 v16, vcc_lo, v1, v16, vcc_lo
	v_cmp_eq_u32_e32 vcc_lo, 0x67, v5
	s_waitcnt lgkmcnt(1)
	global_store_dword v[7:8], v2, off
	global_store_dword v[9:10], v3, off
	s_waitcnt lgkmcnt(0)
	global_store_dword v[11:12], v13, off
	global_store_dword v[15:16], v14, off
	s_and_b32 exec_lo, exec_lo, vcc_lo
	s_cbranch_execz .LBB0_22
; %bb.21:
	ds_read_b32 v2, v6 offset:3328
	v_add_co_u32 v0, vcc_lo, 0x800, v0
	v_add_co_ci_u32_e32 v1, vcc_lo, 0, v1, vcc_lo
	s_waitcnt lgkmcnt(0)
	global_store_dword v[0:1], v2, off offset:1280
.LBB0_22:
	s_endpgm
	.section	.rodata,"a",@progbits
	.p2align	6, 0x0
	.amdhsa_kernel fft_rtc_fwd_len832_factors_13_2_2_2_2_2_2_wgs_104_tpt_104_halfLds_half_op_CI_CI_unitstride_sbrr_R2C_dirReg
		.amdhsa_group_segment_fixed_size 0
		.amdhsa_private_segment_fixed_size 0
		.amdhsa_kernarg_size 104
		.amdhsa_user_sgpr_count 6
		.amdhsa_user_sgpr_private_segment_buffer 1
		.amdhsa_user_sgpr_dispatch_ptr 0
		.amdhsa_user_sgpr_queue_ptr 0
		.amdhsa_user_sgpr_kernarg_segment_ptr 1
		.amdhsa_user_sgpr_dispatch_id 0
		.amdhsa_user_sgpr_flat_scratch_init 0
		.amdhsa_user_sgpr_private_segment_size 0
		.amdhsa_wavefront_size32 1
		.amdhsa_uses_dynamic_stack 0
		.amdhsa_system_sgpr_private_segment_wavefront_offset 0
		.amdhsa_system_sgpr_workgroup_id_x 1
		.amdhsa_system_sgpr_workgroup_id_y 0
		.amdhsa_system_sgpr_workgroup_id_z 0
		.amdhsa_system_sgpr_workgroup_info 0
		.amdhsa_system_vgpr_workitem_id 0
		.amdhsa_next_free_vgpr 97
		.amdhsa_next_free_sgpr 27
		.amdhsa_reserve_vcc 1
		.amdhsa_reserve_flat_scratch 0
		.amdhsa_float_round_mode_32 0
		.amdhsa_float_round_mode_16_64 0
		.amdhsa_float_denorm_mode_32 3
		.amdhsa_float_denorm_mode_16_64 3
		.amdhsa_dx10_clamp 1
		.amdhsa_ieee_mode 1
		.amdhsa_fp16_overflow 0
		.amdhsa_workgroup_processor_mode 1
		.amdhsa_memory_ordered 1
		.amdhsa_forward_progress 0
		.amdhsa_shared_vgpr_count 0
		.amdhsa_exception_fp_ieee_invalid_op 0
		.amdhsa_exception_fp_denorm_src 0
		.amdhsa_exception_fp_ieee_div_zero 0
		.amdhsa_exception_fp_ieee_overflow 0
		.amdhsa_exception_fp_ieee_underflow 0
		.amdhsa_exception_fp_ieee_inexact 0
		.amdhsa_exception_int_div_zero 0
	.end_amdhsa_kernel
	.text
.Lfunc_end0:
	.size	fft_rtc_fwd_len832_factors_13_2_2_2_2_2_2_wgs_104_tpt_104_halfLds_half_op_CI_CI_unitstride_sbrr_R2C_dirReg, .Lfunc_end0-fft_rtc_fwd_len832_factors_13_2_2_2_2_2_2_wgs_104_tpt_104_halfLds_half_op_CI_CI_unitstride_sbrr_R2C_dirReg
                                        ; -- End function
	.section	.AMDGPU.csdata,"",@progbits
; Kernel info:
; codeLenInByte = 8976
; NumSgprs: 29
; NumVgprs: 97
; ScratchSize: 0
; MemoryBound: 0
; FloatMode: 240
; IeeeMode: 1
; LDSByteSize: 0 bytes/workgroup (compile time only)
; SGPRBlocks: 3
; VGPRBlocks: 12
; NumSGPRsForWavesPerEU: 29
; NumVGPRsForWavesPerEU: 97
; Occupancy: 9
; WaveLimiterHint : 1
; COMPUTE_PGM_RSRC2:SCRATCH_EN: 0
; COMPUTE_PGM_RSRC2:USER_SGPR: 6
; COMPUTE_PGM_RSRC2:TRAP_HANDLER: 0
; COMPUTE_PGM_RSRC2:TGID_X_EN: 1
; COMPUTE_PGM_RSRC2:TGID_Y_EN: 0
; COMPUTE_PGM_RSRC2:TGID_Z_EN: 0
; COMPUTE_PGM_RSRC2:TIDIG_COMP_CNT: 0
	.text
	.p2alignl 6, 3214868480
	.fill 48, 4, 3214868480
	.type	__hip_cuid_22b97c11302bc495,@object ; @__hip_cuid_22b97c11302bc495
	.section	.bss,"aw",@nobits
	.globl	__hip_cuid_22b97c11302bc495
__hip_cuid_22b97c11302bc495:
	.byte	0                               ; 0x0
	.size	__hip_cuid_22b97c11302bc495, 1

	.ident	"AMD clang version 19.0.0git (https://github.com/RadeonOpenCompute/llvm-project roc-6.4.0 25133 c7fe45cf4b819c5991fe208aaa96edf142730f1d)"
	.section	".note.GNU-stack","",@progbits
	.addrsig
	.addrsig_sym __hip_cuid_22b97c11302bc495
	.amdgpu_metadata
---
amdhsa.kernels:
  - .args:
      - .actual_access:  read_only
        .address_space:  global
        .offset:         0
        .size:           8
        .value_kind:     global_buffer
      - .offset:         8
        .size:           8
        .value_kind:     by_value
      - .actual_access:  read_only
        .address_space:  global
        .offset:         16
        .size:           8
        .value_kind:     global_buffer
      - .actual_access:  read_only
        .address_space:  global
        .offset:         24
        .size:           8
        .value_kind:     global_buffer
      - .actual_access:  read_only
        .address_space:  global
        .offset:         32
        .size:           8
        .value_kind:     global_buffer
      - .offset:         40
        .size:           8
        .value_kind:     by_value
      - .actual_access:  read_only
        .address_space:  global
        .offset:         48
        .size:           8
        .value_kind:     global_buffer
      - .actual_access:  read_only
        .address_space:  global
        .offset:         56
        .size:           8
        .value_kind:     global_buffer
      - .offset:         64
        .size:           4
        .value_kind:     by_value
      - .actual_access:  read_only
        .address_space:  global
        .offset:         72
        .size:           8
        .value_kind:     global_buffer
      - .actual_access:  read_only
        .address_space:  global
        .offset:         80
        .size:           8
        .value_kind:     global_buffer
      - .actual_access:  read_only
        .address_space:  global
        .offset:         88
        .size:           8
        .value_kind:     global_buffer
      - .actual_access:  write_only
        .address_space:  global
        .offset:         96
        .size:           8
        .value_kind:     global_buffer
    .group_segment_fixed_size: 0
    .kernarg_segment_align: 8
    .kernarg_segment_size: 104
    .language:       OpenCL C
    .language_version:
      - 2
      - 0
    .max_flat_workgroup_size: 104
    .name:           fft_rtc_fwd_len832_factors_13_2_2_2_2_2_2_wgs_104_tpt_104_halfLds_half_op_CI_CI_unitstride_sbrr_R2C_dirReg
    .private_segment_fixed_size: 0
    .sgpr_count:     29
    .sgpr_spill_count: 0
    .symbol:         fft_rtc_fwd_len832_factors_13_2_2_2_2_2_2_wgs_104_tpt_104_halfLds_half_op_CI_CI_unitstride_sbrr_R2C_dirReg.kd
    .uniform_work_group_size: 1
    .uses_dynamic_stack: false
    .vgpr_count:     97
    .vgpr_spill_count: 0
    .wavefront_size: 32
    .workgroup_processor_mode: 1
amdhsa.target:   amdgcn-amd-amdhsa--gfx1030
amdhsa.version:
  - 1
  - 2
...

	.end_amdgpu_metadata
